;; amdgpu-corpus repo=ROCm/rocFFT kind=compiled arch=gfx1100 opt=O3
	.text
	.amdgcn_target "amdgcn-amd-amdhsa--gfx1100"
	.amdhsa_code_object_version 6
	.p2align	2                               ; -- Begin function _Z13load_callbackP15HIP_vector_typeIdLj2EEmPvS2_
	.type	_Z13load_callbackP15HIP_vector_typeIdLj2EEmPvS2_,@function
_Z13load_callbackP15HIP_vector_typeIdLj2EEmPvS2_: ; @_Z13load_callbackP15HIP_vector_typeIdLj2EEmPvS2_
; %bb.0:
	s_waitcnt vmcnt(0) expcnt(0) lgkmcnt(0)
	flat_load_b128 v[4:7], v[4:5]
	v_lshlrev_b64 v[2:3], 4, v[2:3]
	s_delay_alu instid0(VALU_DEP_1) | instskip(NEXT) | instid1(VALU_DEP_2)
	v_add_co_u32 v0, vcc_lo, v0, v2
	v_add_co_ci_u32_e32 v1, vcc_lo, v1, v3, vcc_lo
	s_waitcnt vmcnt(0) lgkmcnt(0)
	v_add_co_u32 v4, vcc_lo, v4, v2
	v_add_co_ci_u32_e32 v5, vcc_lo, v5, v3, vcc_lo
	flat_load_b128 v[0:3], v[0:1]
	flat_load_b128 v[8:11], v[4:5]
	s_waitcnt vmcnt(0) lgkmcnt(0)
	v_mul_f64 v[4:5], v[2:3], v[10:11]
	v_mul_f64 v[10:11], v[0:1], v[10:11]
	s_delay_alu instid0(VALU_DEP_2) | instskip(NEXT) | instid1(VALU_DEP_2)
	v_fma_f64 v[0:1], v[0:1], v[8:9], -v[4:5]
	v_fma_f64 v[2:3], v[2:3], v[8:9], v[10:11]
	s_delay_alu instid0(VALU_DEP_2) | instskip(NEXT) | instid1(VALU_DEP_1)
	v_mul_f64 v[4:5], v[6:7], v[0:1]
	v_fma_f64 v[0:1], -v[6:7], v[2:3], v[4:5]
	v_fma_f64 v[2:3], v[6:7], v[2:3], v[4:5]
	s_setpc_b64 s[30:31]
.Lfunc_end0:
	.size	_Z13load_callbackP15HIP_vector_typeIdLj2EEmPvS2_, .Lfunc_end0-_Z13load_callbackP15HIP_vector_typeIdLj2EEmPvS2_
                                        ; -- End function
	.section	.AMDGPU.csdata,"",@progbits
; Function info:
; codeLenInByte = 140
; NumSgprs: 34
; NumVgprs: 12
; ScratchSize: 0
; MemoryBound: 0
	.text
	.p2alignl 7, 3214868480
	.fill 96, 4, 3214868480
	.protected	load_callback_dev       ; @load_callback_dev
	.type	load_callback_dev,@object
	.data
	.globl	load_callback_dev
	.p2align	3, 0x0
load_callback_dev:
	.quad	_Z13load_callbackP15HIP_vector_typeIdLj2EEmPvS2_
	.size	load_callback_dev, 8

	.type	__hip_cuid_2f4ab6a39b10b70c,@object ; @__hip_cuid_2f4ab6a39b10b70c
	.section	.bss,"aw",@nobits
	.globl	__hip_cuid_2f4ab6a39b10b70c
__hip_cuid_2f4ab6a39b10b70c:
	.byte	0                               ; 0x0
	.size	__hip_cuid_2f4ab6a39b10b70c, 1

	.ident	"AMD clang version 19.0.0git (https://github.com/RadeonOpenCompute/llvm-project roc-6.4.0 25133 c7fe45cf4b819c5991fe208aaa96edf142730f1d)"
	.section	".note.GNU-stack","",@progbits
	.addrsig
	.addrsig_sym _Z13load_callbackP15HIP_vector_typeIdLj2EEmPvS2_
	.addrsig_sym load_callback_dev
	.addrsig_sym __hip_cuid_2f4ab6a39b10b70c
	.amdgpu_metadata
---
amdhsa.kernels:  []
amdhsa.target:   amdgcn-amd-amdhsa--gfx1100
amdhsa.version:
  - 1
  - 2
...

	.end_amdgpu_metadata
